;; amdgpu-corpus repo=ROCm/rocFFT kind=compiled arch=gfx1030 opt=O3
	.text
	.amdgcn_target "amdgcn-amd-amdhsa--gfx1030"
	.amdhsa_code_object_version 6
	.protected	fft_rtc_back_len432_factors_3_16_3_3_wgs_54_tpt_27_halfLds_half_op_CI_CI_unitstride_sbrr_dirReg ; -- Begin function fft_rtc_back_len432_factors_3_16_3_3_wgs_54_tpt_27_halfLds_half_op_CI_CI_unitstride_sbrr_dirReg
	.globl	fft_rtc_back_len432_factors_3_16_3_3_wgs_54_tpt_27_halfLds_half_op_CI_CI_unitstride_sbrr_dirReg
	.p2align	8
	.type	fft_rtc_back_len432_factors_3_16_3_3_wgs_54_tpt_27_halfLds_half_op_CI_CI_unitstride_sbrr_dirReg,@function
fft_rtc_back_len432_factors_3_16_3_3_wgs_54_tpt_27_halfLds_half_op_CI_CI_unitstride_sbrr_dirReg: ; @fft_rtc_back_len432_factors_3_16_3_3_wgs_54_tpt_27_halfLds_half_op_CI_CI_unitstride_sbrr_dirReg
; %bb.0:
	s_clause 0x2
	s_load_dwordx4 s[8:11], s[4:5], 0x0
	s_load_dwordx4 s[12:15], s[4:5], 0x58
	;; [unrolled: 1-line block ×3, first 2 shown]
	v_mul_u32_u24_e32 v1, 0x97c, v0
	v_mov_b32_e32 v8, 0
	v_lshrrev_b32_e32 v3, 16, v1
	v_mov_b32_e32 v1, 0
	v_mov_b32_e32 v11, v8
	v_mov_b32_e32 v2, 0
	v_lshl_add_u32 v10, s6, 1, v3
	s_waitcnt lgkmcnt(0)
	v_cmp_lt_u64_e64 s0, s[10:11], 2
	s_and_b32 vcc_lo, exec_lo, s0
	s_cbranch_vccnz .LBB0_8
; %bb.1:
	s_load_dwordx2 s[0:1], s[4:5], 0x10
	v_mov_b32_e32 v1, 0
	v_mov_b32_e32 v2, 0
	s_add_u32 s2, s18, 8
	s_addc_u32 s3, s19, 0
	s_add_u32 s6, s16, 8
	s_addc_u32 s7, s17, 0
	v_mov_b32_e32 v5, v2
	v_mov_b32_e32 v4, v1
	s_mov_b64 s[22:23], 1
	s_waitcnt lgkmcnt(0)
	s_add_u32 s20, s0, 8
	s_addc_u32 s21, s1, 0
.LBB0_2:                                ; =>This Inner Loop Header: Depth=1
	s_load_dwordx2 s[24:25], s[20:21], 0x0
                                        ; implicit-def: $vgpr6_vgpr7
	s_mov_b32 s0, exec_lo
	s_waitcnt lgkmcnt(0)
	v_or_b32_e32 v9, s25, v11
	v_cmpx_ne_u64_e32 0, v[8:9]
	s_xor_b32 s1, exec_lo, s0
	s_cbranch_execz .LBB0_4
; %bb.3:                                ;   in Loop: Header=BB0_2 Depth=1
	v_cvt_f32_u32_e32 v6, s24
	v_cvt_f32_u32_e32 v7, s25
	s_sub_u32 s0, 0, s24
	s_subb_u32 s26, 0, s25
	v_fmac_f32_e32 v6, 0x4f800000, v7
	v_rcp_f32_e32 v6, v6
	v_mul_f32_e32 v6, 0x5f7ffffc, v6
	v_mul_f32_e32 v7, 0x2f800000, v6
	v_trunc_f32_e32 v7, v7
	v_fmac_f32_e32 v6, 0xcf800000, v7
	v_cvt_u32_f32_e32 v7, v7
	v_cvt_u32_f32_e32 v6, v6
	v_mul_lo_u32 v9, s0, v7
	v_mul_hi_u32 v12, s0, v6
	v_mul_lo_u32 v13, s26, v6
	v_add_nc_u32_e32 v9, v12, v9
	v_mul_lo_u32 v12, s0, v6
	v_add_nc_u32_e32 v9, v9, v13
	v_mul_hi_u32 v13, v6, v12
	v_mul_lo_u32 v14, v6, v9
	v_mul_hi_u32 v15, v6, v9
	v_mul_hi_u32 v16, v7, v12
	v_mul_lo_u32 v12, v7, v12
	v_mul_hi_u32 v17, v7, v9
	v_mul_lo_u32 v9, v7, v9
	v_add_co_u32 v13, vcc_lo, v13, v14
	v_add_co_ci_u32_e32 v14, vcc_lo, 0, v15, vcc_lo
	v_add_co_u32 v12, vcc_lo, v13, v12
	v_add_co_ci_u32_e32 v12, vcc_lo, v14, v16, vcc_lo
	v_add_co_ci_u32_e32 v13, vcc_lo, 0, v17, vcc_lo
	v_add_co_u32 v9, vcc_lo, v12, v9
	v_add_co_ci_u32_e32 v12, vcc_lo, 0, v13, vcc_lo
	v_add_co_u32 v6, vcc_lo, v6, v9
	v_add_co_ci_u32_e32 v7, vcc_lo, v7, v12, vcc_lo
	v_mul_hi_u32 v9, s0, v6
	v_mul_lo_u32 v13, s26, v6
	v_mul_lo_u32 v12, s0, v7
	v_add_nc_u32_e32 v9, v9, v12
	v_mul_lo_u32 v12, s0, v6
	v_add_nc_u32_e32 v9, v9, v13
	v_mul_hi_u32 v13, v6, v12
	v_mul_lo_u32 v14, v6, v9
	v_mul_hi_u32 v15, v6, v9
	v_mul_hi_u32 v16, v7, v12
	v_mul_lo_u32 v12, v7, v12
	v_mul_hi_u32 v17, v7, v9
	v_mul_lo_u32 v9, v7, v9
	v_add_co_u32 v13, vcc_lo, v13, v14
	v_add_co_ci_u32_e32 v14, vcc_lo, 0, v15, vcc_lo
	v_add_co_u32 v12, vcc_lo, v13, v12
	v_add_co_ci_u32_e32 v12, vcc_lo, v14, v16, vcc_lo
	v_add_co_ci_u32_e32 v13, vcc_lo, 0, v17, vcc_lo
	v_add_co_u32 v9, vcc_lo, v12, v9
	v_add_co_ci_u32_e32 v12, vcc_lo, 0, v13, vcc_lo
	v_add_co_u32 v9, vcc_lo, v6, v9
	v_add_co_ci_u32_e32 v14, vcc_lo, v7, v12, vcc_lo
	v_mul_hi_u32 v16, v10, v9
	v_mad_u64_u32 v[12:13], null, v11, v9, 0
	v_mad_u64_u32 v[6:7], null, v10, v14, 0
	v_mad_u64_u32 v[14:15], null, v11, v14, 0
	v_add_co_u32 v6, vcc_lo, v16, v6
	v_add_co_ci_u32_e32 v7, vcc_lo, 0, v7, vcc_lo
	v_add_co_u32 v6, vcc_lo, v6, v12
	v_add_co_ci_u32_e32 v6, vcc_lo, v7, v13, vcc_lo
	v_add_co_ci_u32_e32 v7, vcc_lo, 0, v15, vcc_lo
	v_add_co_u32 v9, vcc_lo, v6, v14
	v_add_co_ci_u32_e32 v12, vcc_lo, 0, v7, vcc_lo
	v_mul_lo_u32 v13, s25, v9
	v_mad_u64_u32 v[6:7], null, s24, v9, 0
	v_mul_lo_u32 v14, s24, v12
	v_sub_co_u32 v6, vcc_lo, v10, v6
	v_add3_u32 v7, v7, v14, v13
	v_sub_nc_u32_e32 v13, v11, v7
	v_subrev_co_ci_u32_e64 v13, s0, s25, v13, vcc_lo
	v_add_co_u32 v14, s0, v9, 2
	v_add_co_ci_u32_e64 v15, s0, 0, v12, s0
	v_sub_co_u32 v16, s0, v6, s24
	v_sub_co_ci_u32_e32 v7, vcc_lo, v11, v7, vcc_lo
	v_subrev_co_ci_u32_e64 v13, s0, 0, v13, s0
	v_cmp_le_u32_e32 vcc_lo, s24, v16
	v_cmp_eq_u32_e64 s0, s25, v7
	v_cndmask_b32_e64 v16, 0, -1, vcc_lo
	v_cmp_le_u32_e32 vcc_lo, s25, v13
	v_cndmask_b32_e64 v17, 0, -1, vcc_lo
	v_cmp_le_u32_e32 vcc_lo, s24, v6
	;; [unrolled: 2-line block ×3, first 2 shown]
	v_cndmask_b32_e64 v18, 0, -1, vcc_lo
	v_cmp_eq_u32_e32 vcc_lo, s25, v13
	v_cndmask_b32_e64 v6, v18, v6, s0
	v_cndmask_b32_e32 v13, v17, v16, vcc_lo
	v_add_co_u32 v16, vcc_lo, v9, 1
	v_add_co_ci_u32_e32 v17, vcc_lo, 0, v12, vcc_lo
	v_cmp_ne_u32_e32 vcc_lo, 0, v13
	v_cndmask_b32_e32 v7, v17, v15, vcc_lo
	v_cndmask_b32_e32 v13, v16, v14, vcc_lo
	v_cmp_ne_u32_e32 vcc_lo, 0, v6
	v_cndmask_b32_e32 v7, v12, v7, vcc_lo
	v_cndmask_b32_e32 v6, v9, v13, vcc_lo
.LBB0_4:                                ;   in Loop: Header=BB0_2 Depth=1
	s_andn2_saveexec_b32 s0, s1
	s_cbranch_execz .LBB0_6
; %bb.5:                                ;   in Loop: Header=BB0_2 Depth=1
	v_cvt_f32_u32_e32 v6, s24
	s_sub_i32 s1, 0, s24
	v_rcp_iflag_f32_e32 v6, v6
	v_mul_f32_e32 v6, 0x4f7ffffe, v6
	v_cvt_u32_f32_e32 v6, v6
	v_mul_lo_u32 v7, s1, v6
	v_mul_hi_u32 v7, v6, v7
	v_add_nc_u32_e32 v6, v6, v7
	v_mul_hi_u32 v6, v10, v6
	v_mul_lo_u32 v7, v6, s24
	v_add_nc_u32_e32 v9, 1, v6
	v_sub_nc_u32_e32 v7, v10, v7
	v_subrev_nc_u32_e32 v12, s24, v7
	v_cmp_le_u32_e32 vcc_lo, s24, v7
	v_cndmask_b32_e32 v7, v7, v12, vcc_lo
	v_cndmask_b32_e32 v6, v6, v9, vcc_lo
	v_cmp_le_u32_e32 vcc_lo, s24, v7
	v_add_nc_u32_e32 v9, 1, v6
	v_mov_b32_e32 v7, v8
	v_cndmask_b32_e32 v6, v6, v9, vcc_lo
.LBB0_6:                                ;   in Loop: Header=BB0_2 Depth=1
	s_or_b32 exec_lo, exec_lo, s0
	v_mul_lo_u32 v9, v7, s24
	v_mul_lo_u32 v14, v6, s25
	s_load_dwordx2 s[0:1], s[6:7], 0x0
	v_mad_u64_u32 v[12:13], null, v6, s24, 0
	s_load_dwordx2 s[24:25], s[2:3], 0x0
	s_add_u32 s22, s22, 1
	s_addc_u32 s23, s23, 0
	s_add_u32 s2, s2, 8
	s_addc_u32 s3, s3, 0
	s_add_u32 s6, s6, 8
	v_add3_u32 v9, v13, v14, v9
	v_sub_co_u32 v10, vcc_lo, v10, v12
	s_addc_u32 s7, s7, 0
	s_add_u32 s20, s20, 8
	v_sub_co_ci_u32_e32 v9, vcc_lo, v11, v9, vcc_lo
	s_addc_u32 s21, s21, 0
	s_waitcnt lgkmcnt(0)
	v_mul_lo_u32 v11, s0, v9
	v_mul_lo_u32 v12, s1, v10
	v_mad_u64_u32 v[1:2], null, s0, v10, v[1:2]
	v_mul_lo_u32 v9, s24, v9
	v_mul_lo_u32 v13, s25, v10
	v_mad_u64_u32 v[4:5], null, s24, v10, v[4:5]
	v_cmp_ge_u64_e64 s0, s[22:23], s[10:11]
	v_add3_u32 v2, v12, v2, v11
	v_add3_u32 v5, v13, v5, v9
	s_and_b32 vcc_lo, exec_lo, s0
	s_cbranch_vccnz .LBB0_9
; %bb.7:                                ;   in Loop: Header=BB0_2 Depth=1
	v_mov_b32_e32 v11, v7
	v_mov_b32_e32 v10, v6
	s_branch .LBB0_2
.LBB0_8:
	v_mov_b32_e32 v5, v2
	v_mov_b32_e32 v6, v10
	;; [unrolled: 1-line block ×4, first 2 shown]
.LBB0_9:
	s_load_dwordx2 s[2:3], s[4:5], 0x28
	v_mul_hi_u32 v10, 0x97b425f, v0
	s_lshl_b64 s[4:5], s[10:11], 3
                                        ; implicit-def: $vgpr16
	s_waitcnt lgkmcnt(0)
	v_cmp_gt_u64_e64 s0, s[2:3], v[6:7]
	v_cmp_le_u64_e32 vcc_lo, s[2:3], v[6:7]
	s_add_u32 s2, s18, s4
	s_addc_u32 s3, s19, s5
	s_and_saveexec_b32 s1, vcc_lo
	s_xor_b32 s1, exec_lo, s1
; %bb.10:
	v_mul_u32_u24_e32 v1, 27, v10
                                        ; implicit-def: $vgpr10
	v_sub_nc_u32_e32 v16, v0, v1
                                        ; implicit-def: $vgpr0
                                        ; implicit-def: $vgpr1_vgpr2
; %bb.11:
	s_or_saveexec_b32 s1, s1
	s_load_dwordx2 s[2:3], s[2:3], 0x0
                                        ; implicit-def: $vgpr23
                                        ; implicit-def: $vgpr35
                                        ; implicit-def: $vgpr45
                                        ; implicit-def: $vgpr28
                                        ; implicit-def: $vgpr38
                                        ; implicit-def: $vgpr30
                                        ; implicit-def: $vgpr24
                                        ; implicit-def: $vgpr39
                                        ; implicit-def: $vgpr46
                                        ; implicit-def: $vgpr26
                                        ; implicit-def: $vgpr43
                                        ; implicit-def: $vgpr29
                                        ; implicit-def: $vgpr25
                                        ; implicit-def: $vgpr33
                                        ; implicit-def: $vgpr44
                                        ; implicit-def: $vgpr8
                                        ; implicit-def: $vgpr37
                                        ; implicit-def: $vgpr20
                                        ; implicit-def: $vgpr27
                                        ; implicit-def: $vgpr32
                                        ; implicit-def: $vgpr42
                                        ; implicit-def: $vgpr15
                                        ; implicit-def: $vgpr41
                                        ; implicit-def: $vgpr22
                                        ; implicit-def: $vgpr36
                                        ; implicit-def: $vgpr40
                                        ; implicit-def: $vgpr34
                                        ; implicit-def: $vgpr9
                                        ; implicit-def: $vgpr31
                                        ; implicit-def: $vgpr11
                                        ; implicit-def: $vgpr18
                                        ; implicit-def: $vgpr47
                                        ; implicit-def: $vgpr19
                                        ; implicit-def: $vgpr17
                                        ; implicit-def: $vgpr21
                                        ; implicit-def: $vgpr12
	s_xor_b32 exec_lo, exec_lo, s1
	s_cbranch_execz .LBB0_15
; %bb.12:
	s_add_u32 s4, s16, s4
	s_addc_u32 s5, s17, s5
	v_mul_u32_u24_e32 v10, 27, v10
	s_load_dwordx2 s[4:5], s[4:5], 0x0
	v_lshlrev_b64 v[1:2], 2, v[1:2]
                                        ; implicit-def: $vgpr21
                                        ; implicit-def: $vgpr17
                                        ; implicit-def: $vgpr19
                                        ; implicit-def: $vgpr47
                                        ; implicit-def: $vgpr18
	v_sub_nc_u32_e32 v16, v0, v10
	s_waitcnt lgkmcnt(0)
	v_mul_lo_u32 v11, s5, v6
	v_mul_lo_u32 v12, s4, v7
	v_mad_u64_u32 v[8:9], null, s4, v6, 0
	s_mov_b32 s4, exec_lo
	v_add3_u32 v9, v9, v12, v11
                                        ; implicit-def: $vgpr12
	v_lshlrev_b64 v[8:9], 2, v[8:9]
	v_add_co_u32 v0, vcc_lo, s12, v8
	v_add_co_ci_u32_e32 v8, vcc_lo, s13, v9, vcc_lo
	v_lshlrev_b32_e32 v9, 2, v16
	v_add_co_u32 v0, vcc_lo, v0, v1
	v_add_co_ci_u32_e32 v1, vcc_lo, v8, v2, vcc_lo
	v_add_co_u32 v0, vcc_lo, v0, v9
	v_add_co_ci_u32_e32 v1, vcc_lo, 0, v1, vcc_lo
	s_clause 0xe
	global_load_dword v26, v[0:1], off offset:684
	global_load_dword v8, v[0:1], off offset:792
	global_load_dword v35, v[0:1], off
	global_load_dword v39, v[0:1], off offset:108
	global_load_dword v33, v[0:1], off offset:216
	;; [unrolled: 1-line block ×12, first 2 shown]
	v_cmpx_gt_u32_e32 9, v16
	s_cbranch_execz .LBB0_14
; %bb.13:
	s_clause 0x2
	global_load_dword v47, v[0:1], off offset:540
	global_load_dword v12, v[0:1], off offset:1116
	;; [unrolled: 1-line block ×3, first 2 shown]
	s_waitcnt vmcnt(2)
	v_lshrrev_b32_e32 v18, 16, v47
	s_waitcnt vmcnt(1)
	v_lshrrev_b32_e32 v21, 16, v12
	s_waitcnt vmcnt(0)
	v_lshrrev_b32_e32 v19, 16, v17
.LBB0_14:
	s_or_b32 exec_lo, exec_lo, s4
	s_waitcnt vmcnt(12)
	v_lshrrev_b32_e32 v23, 16, v35
	s_waitcnt vmcnt(7)
	v_lshrrev_b32_e32 v45, 16, v28
	;; [unrolled: 2-line block ×3, first 2 shown]
	v_lshrrev_b32_e32 v24, 16, v39
	v_lshrrev_b32_e32 v46, 16, v26
	;; [unrolled: 1-line block ×10, first 2 shown]
	s_waitcnt vmcnt(0)
	v_lshrrev_b32_e32 v34, 16, v9
	v_lshrrev_b32_e32 v31, 16, v11
.LBB0_15:
	s_or_b32 exec_lo, exec_lo, s1
	v_and_b32_e32 v0, 1, v3
	v_add_f16_e32 v1, v28, v30
	v_add_f16_e32 v2, v35, v28
	;; [unrolled: 1-line block ×4, first 2 shown]
	v_cmp_eq_u32_e32 vcc_lo, 1, v0
	v_fmac_f16_e32 v35, -0.5, v1
	v_sub_f16_e32 v0, v45, v38
	v_add_f16_e32 v1, v2, v30
	v_add_f16_e32 v2, v39, v26
	v_fmac_f16_e32 v39, -0.5, v3
	v_sub_f16_e32 v3, v46, v43
	v_fmamk_f16 v48, v0, 0xbaee, v35
	v_fmac_f16_e32 v35, 0x3aee, v0
	v_add_f16_e32 v0, v8, v20
	v_cndmask_b32_e64 v49, 0, 0x1b0, vcc_lo
	v_fmamk_f16 v50, v3, 0xbaee, v39
	v_fmac_f16_e32 v39, 0x3aee, v3
	v_add_f16_e32 v3, v15, v22
	v_fmac_f16_e32 v33, -0.5, v0
	v_sub_f16_e32 v0, v44, v37
	v_add_f16_e32 v51, v10, v20
	v_add_f16_e32 v10, v32, v15
	v_fmac_f16_e32 v32, -0.5, v3
	v_sub_f16_e32 v3, v42, v41
	v_fmamk_f16 v52, v0, 0xbaee, v33
	v_fmac_f16_e32 v33, 0x3aee, v0
	v_add_f16_e32 v53, v10, v22
	v_add_f16_e32 v0, v9, v11
	v_mad_u32_u24 v55, v16, 6, 0
	v_lshlrev_b32_e32 v10, 1, v49
	v_fmamk_f16 v54, v3, 0xbaee, v32
	v_fmac_f16_e32 v32, 0x3aee, v3
	v_add_f16_e32 v3, v40, v9
	v_add_f16_e32 v13, v17, v12
	v_fmac_f16_e32 v40, -0.5, v0
	v_add_nc_u32_e32 v0, v55, v10
	v_add_f16_e32 v2, v2, v29
	v_sub_f16_e32 v14, v34, v31
	v_fma_f16 v13, -0.5, v13, v47
	v_sub_f16_e32 v56, v21, v19
	ds_write_b16 v0, v1
	ds_write_b16 v0, v48 offset:2
	ds_write_b16 v0, v35 offset:4
	v_add_nc_u32_e32 v35, 0x288, v55
	v_add_f16_e32 v57, v3, v11
	v_fmamk_f16 v58, v14, 0xbaee, v40
	v_fmac_f16_e32 v40, 0x3aee, v14
	v_fmamk_f16 v14, v56, 0xbaee, v13
	v_fmac_f16_e32 v13, 0x3aee, v56
	v_add_nc_u32_e32 v1, 0xa2, v0
	ds_write_b16 v0, v2 offset:162
	ds_write_b16 v0, v50 offset:164
	;; [unrolled: 1-line block ×3, first 2 shown]
	v_add_nc_u32_e32 v2, 0x144, v0
	v_add_nc_u32_e32 v48, 0x1e6, v0
	;; [unrolled: 1-line block ×3, first 2 shown]
	v_cmp_gt_u32_e32 vcc_lo, 9, v16
	ds_write_b16 v0, v51 offset:324
	ds_write_b16 v0, v52 offset:326
	;; [unrolled: 1-line block ×6, first 2 shown]
	ds_write_b16 v3, v57
	ds_write_b16 v3, v58 offset:2
	ds_write_b16 v3, v40 offset:4
	s_and_saveexec_b32 s1, vcc_lo
	s_cbranch_execz .LBB0_17
; %bb.16:
	v_add_f16_e32 v32, v47, v12
	v_lshl_add_u32 v33, v49, 1, v35
	v_add_f16_e32 v32, v17, v32
	ds_write_b16 v33, v14 offset:164
	ds_write_b16 v33, v32 offset:162
	;; [unrolled: 1-line block ×3, first 2 shown]
.LBB0_17:
	s_or_b32 exec_lo, exec_lo, s1
	v_add_f16_e32 v32, v45, v38
	v_add_f16_e32 v33, v23, v45
	v_sub_f16_e32 v28, v28, v30
	v_add_f16_e32 v30, v46, v43
	v_sub_f16_e32 v26, v26, v29
	v_fmac_f16_e32 v23, -0.5, v32
	v_add_f16_e32 v32, v24, v46
	v_add_f16_e32 v29, v25, v44
	v_fmac_f16_e32 v24, -0.5, v30
	v_sub_f16_e32 v8, v8, v20
	v_fmamk_f16 v46, v28, 0x3aee, v23
	v_fmac_f16_e32 v23, 0xbaee, v28
	v_add_f16_e32 v28, v44, v37
	v_fmamk_f16 v47, v26, 0x3aee, v24
	v_fmac_f16_e32 v24, 0xbaee, v26
	v_add_f16_e32 v26, v42, v41
	v_add_f16_e32 v20, v27, v42
	v_fmac_f16_e32 v25, -0.5, v28
	v_sub_f16_e32 v15, v15, v22
	v_sub_f16_e32 v9, v9, v11
	v_fmac_f16_e32 v27, -0.5, v26
	v_add_f16_e32 v49, v20, v41
	v_fmamk_f16 v42, v8, 0x3aee, v25
	v_fmac_f16_e32 v25, 0xbaee, v8
	v_add_f16_e32 v8, v34, v31
	v_fmamk_f16 v50, v15, 0x3aee, v27
	v_fmac_f16_e32 v27, 0xbaee, v15
	v_add_f16_e32 v15, v19, v21
	v_add_f16_e32 v20, v36, v34
	v_fmac_f16_e32 v36, -0.5, v8
	v_lshlrev_b32_e32 v8, 1, v16
	v_sub_f16_e32 v11, v12, v17
	v_fma_f16 v15, -0.5, v15, v18
	v_add_f16_e32 v51, v20, v31
	v_add_f16_e32 v45, v33, v38
	v_add_nc_u32_e32 v17, 0, v8
	v_add3_u32 v12, 0, v10, v8
	v_fmamk_f16 v20, v11, 0x3aee, v15
	v_fmac_f16_e32 v15, 0xbaee, v11
	v_add_f16_e32 v43, v32, v43
	v_add_nc_u32_e32 v11, v17, v10
	v_add_f16_e32 v44, v29, v37
	v_fmamk_f16 v52, v9, 0x3aee, v36
	v_fmac_f16_e32 v36, 0xbaee, v9
	s_waitcnt lgkmcnt(0)
	s_barrier
	buffer_gl0_inv
	ds_read_u16 v22, v12
	ds_read_u16 v41, v11 offset:54
	ds_read_u16 v40, v11 offset:108
	;; [unrolled: 1-line block ×15, first 2 shown]
	v_add_nc_u32_e32 v17, 0x87, v16
	s_waitcnt lgkmcnt(0)
	s_barrier
	buffer_gl0_inv
	ds_write_b16 v0, v45
	ds_write_b16 v0, v46 offset:2
	ds_write_b16 v0, v23 offset:4
	ds_write_b16 v1, v43
	ds_write_b16 v1, v47 offset:2
	ds_write_b16 v1, v24 offset:4
	;; [unrolled: 3-line block ×5, first 2 shown]
	s_and_saveexec_b32 s1, vcc_lo
	s_cbranch_execz .LBB0_19
; %bb.18:
	v_add_f16_e32 v0, v18, v21
	v_mul_u32_u24_e32 v1, 6, v17
	v_add_f16_e32 v0, v19, v0
	v_add3_u32 v1, 0, v1, v10
	ds_write_b16 v1, v0
	ds_write_b16 v1, v20 offset:2
	ds_write_b16 v1, v15 offset:4
.LBB0_19:
	s_or_b32 exec_lo, exec_lo, s1
	v_and_b32_e32 v0, 0xff, v16
	v_mov_b32_e32 v1, 15
	s_waitcnt lgkmcnt(0)
	s_barrier
	buffer_gl0_inv
	v_mul_lo_u16 v0, 0xab, v0
	v_lshrrev_b16 v18, 9, v0
	v_mul_lo_u16 v0, v18, 3
	v_sub_nc_u16 v19, v16, v0
	v_mul_u32_u24_sdwa v0, v19, v1 dst_sel:DWORD dst_unused:UNUSED_PAD src0_sel:BYTE_0 src1_sel:DWORD
	v_lshlrev_b32_e32 v21, 2, v0
	s_clause 0x3
	global_load_dwordx4 v[43:46], v21, s[8:9]
	global_load_dwordx4 v[0:3], v21, s[8:9] offset:16
	global_load_dwordx4 v[47:50], v21, s[8:9] offset:32
	global_load_dwordx3 v[23:25], v21, s[8:9] offset:48
	v_mov_b32_e32 v21, 48
	v_mul_u32_u24_sdwa v18, v18, v21 dst_sel:DWORD dst_unused:UNUSED_PAD src0_sel:WORD_0 src1_sel:DWORD
	v_or_b32_sdwa v18, v18, v19 dst_sel:DWORD dst_unused:UNUSED_PAD src0_sel:DWORD src1_sel:BYTE_0
	ds_read_u16 v19, v12
	ds_read_u16 v21, v11 offset:54
	ds_read_u16 v27, v11 offset:108
	;; [unrolled: 1-line block ×15, first 2 shown]
	s_waitcnt vmcnt(0) lgkmcnt(0)
	s_barrier
	v_lshlrev_b32_e32 v18, 1, v18
	buffer_gl0_inv
	v_add3_u32 v36, 0, v18, v10
	v_mul_f16_sdwa v18, v21, v43 dst_sel:DWORD dst_unused:UNUSED_PAD src0_sel:DWORD src1_sel:WORD_1
	v_mul_f16_sdwa v63, v41, v43 dst_sel:DWORD dst_unused:UNUSED_PAD src0_sel:DWORD src1_sel:WORD_1
	v_mul_f16_sdwa v64, v27, v44 dst_sel:DWORD dst_unused:UNUSED_PAD src0_sel:DWORD src1_sel:WORD_1
	v_mul_f16_sdwa v65, v40, v44 dst_sel:DWORD dst_unused:UNUSED_PAD src0_sel:DWORD src1_sel:WORD_1
	v_mul_f16_sdwa v66, v51, v45 dst_sel:DWORD dst_unused:UNUSED_PAD src0_sel:DWORD src1_sel:WORD_1
	v_mul_f16_sdwa v67, v39, v45 dst_sel:DWORD dst_unused:UNUSED_PAD src0_sel:DWORD src1_sel:WORD_1
	v_mul_f16_sdwa v68, v52, v46 dst_sel:DWORD dst_unused:UNUSED_PAD src0_sel:DWORD src1_sel:WORD_1
	v_mul_f16_sdwa v69, v38, v46 dst_sel:DWORD dst_unused:UNUSED_PAD src0_sel:DWORD src1_sel:WORD_1
	v_mul_f16_sdwa v70, v53, v0 dst_sel:DWORD dst_unused:UNUSED_PAD src0_sel:DWORD src1_sel:WORD_1
	v_mul_f16_sdwa v71, v37, v0 dst_sel:DWORD dst_unused:UNUSED_PAD src0_sel:DWORD src1_sel:WORD_1
	v_mul_f16_sdwa v72, v54, v1 dst_sel:DWORD dst_unused:UNUSED_PAD src0_sel:DWORD src1_sel:WORD_1
	v_mul_f16_sdwa v73, v35, v1 dst_sel:DWORD dst_unused:UNUSED_PAD src0_sel:DWORD src1_sel:WORD_1
	v_mul_f16_sdwa v74, v55, v2 dst_sel:DWORD dst_unused:UNUSED_PAD src0_sel:DWORD src1_sel:WORD_1
	v_mul_f16_sdwa v75, v33, v2 dst_sel:DWORD dst_unused:UNUSED_PAD src0_sel:DWORD src1_sel:WORD_1
	v_mul_f16_sdwa v76, v42, v3 dst_sel:DWORD dst_unused:UNUSED_PAD src0_sel:DWORD src1_sel:WORD_1
	v_mul_f16_sdwa v77, v56, v47 dst_sel:DWORD dst_unused:UNUSED_PAD src0_sel:DWORD src1_sel:WORD_1
	v_mul_f16_sdwa v79, v57, v48 dst_sel:DWORD dst_unused:UNUSED_PAD src0_sel:DWORD src1_sel:WORD_1
	v_mul_f16_sdwa v80, v32, v48 dst_sel:DWORD dst_unused:UNUSED_PAD src0_sel:DWORD src1_sel:WORD_1
	v_mul_f16_sdwa v81, v58, v49 dst_sel:DWORD dst_unused:UNUSED_PAD src0_sel:DWORD src1_sel:WORD_1
	v_mul_f16_sdwa v83, v59, v50 dst_sel:DWORD dst_unused:UNUSED_PAD src0_sel:DWORD src1_sel:WORD_1
	v_mul_f16_sdwa v84, v30, v50 dst_sel:DWORD dst_unused:UNUSED_PAD src0_sel:DWORD src1_sel:WORD_1
	v_mul_f16_sdwa v85, v60, v23 dst_sel:DWORD dst_unused:UNUSED_PAD src0_sel:DWORD src1_sel:WORD_1
	v_fmac_f16_e32 v18, v41, v43
	v_mul_f16_sdwa v41, v29, v23 dst_sel:DWORD dst_unused:UNUSED_PAD src0_sel:DWORD src1_sel:WORD_1
	v_fma_f16 v21, v21, v43, -v63
	v_mul_f16_sdwa v43, v61, v24 dst_sel:DWORD dst_unused:UNUSED_PAD src0_sel:DWORD src1_sel:WORD_1
	v_fmac_f16_e32 v64, v40, v44
	v_mul_f16_sdwa v40, v28, v24 dst_sel:DWORD dst_unused:UNUSED_PAD src0_sel:DWORD src1_sel:WORD_1
	v_fma_f16 v27, v27, v44, -v65
	v_mul_f16_sdwa v44, v62, v25 dst_sel:DWORD dst_unused:UNUSED_PAD src0_sel:DWORD src1_sel:WORD_1
	v_fmac_f16_e32 v66, v39, v45
	v_mul_f16_sdwa v39, v26, v25 dst_sel:DWORD dst_unused:UNUSED_PAD src0_sel:DWORD src1_sel:WORD_1
	v_mul_f16_sdwa v78, v34, v47 dst_sel:DWORD dst_unused:UNUSED_PAD src0_sel:DWORD src1_sel:WORD_1
	;; [unrolled: 1-line block ×3, first 2 shown]
	v_fmac_f16_e32 v68, v38, v46
	v_fma_f16 v38, v52, v46, -v69
	v_fmac_f16_e32 v70, v37, v0
	v_fma_f16 v0, v53, v0, -v71
	;; [unrolled: 2-line block ×4, first 2 shown]
	v_fmac_f16_e32 v77, v34, v47
	v_fmac_f16_e32 v79, v32, v48
	;; [unrolled: 1-line block ×3, first 2 shown]
	v_fma_f16 v32, v57, v48, -v80
	v_fmac_f16_e32 v81, v31, v49
	v_fmac_f16_e32 v83, v30, v50
	v_fma_f16 v30, v59, v50, -v84
	v_fmac_f16_e32 v85, v29, v23
	v_fma_f16 v23, v60, v23, -v41
	;; [unrolled: 2-line block ×4, first 2 shown]
	v_fma_f16 v33, v56, v47, -v78
	v_fma_f16 v45, v51, v45, -v67
	;; [unrolled: 1-line block ×3, first 2 shown]
	v_sub_f16_e32 v26, v22, v76
	v_sub_f16_e32 v41, v38, v30
	;; [unrolled: 1-line block ×15, first 2 shown]
	v_fma_f16 v0, v0, 2.0, -v23
	v_fma_f16 v2, v2, 2.0, -v25
	v_add_f16_e32 v51, v26, v41
	v_add_f16_e32 v52, v28, v24
	v_sub_f16_e32 v53, v29, v30
	v_add_f16_e32 v23, v32, v23
	v_add_f16_e32 v25, v35, v25
	v_fma_f16 v22, v22, 2.0, -v26
	v_fma_f16 v40, v68, 2.0, -v39
	;; [unrolled: 1-line block ×10, first 2 shown]
	v_sub_f16_e32 v24, v33, v34
	v_fma_f16 v45, v45, 2.0, -v31
	v_fma_f16 v21, v21, 2.0, -v33
	v_sub_f16_e32 v30, v31, v37
	v_fma_f16 v26, v26, 2.0, -v51
	v_fma_f16 v54, v28, 2.0, -v52
	;; [unrolled: 1-line block ×5, first 2 shown]
	v_sub_f16_e32 v34, v22, v40
	v_sub_f16_e32 v1, v43, v27
	;; [unrolled: 1-line block ×3, first 2 shown]
	v_fma_f16 v32, v33, 2.0, -v24
	v_sub_f16_e32 v33, v48, v50
	v_sub_f16_e32 v49, v46, v44
	;; [unrolled: 1-line block ×4, first 2 shown]
	v_fmamk_f16 v55, v52, 0x39a8, v51
	v_fmamk_f16 v0, v25, 0x39a8, v23
	v_fma_f16 v31, v31, 2.0, -v30
	v_fmamk_f16 v58, v54, 0xb9a8, v26
	v_fmamk_f16 v2, v35, 0xb9a8, v29
	;; [unrolled: 1-line block ×3, first 2 shown]
	v_fma_f16 v22, v22, 2.0, -v34
	v_fma_f16 v43, v43, 2.0, -v1
	;; [unrolled: 1-line block ×4, first 2 shown]
	v_add_f16_e32 v59, v34, v49
	v_add_f16_e32 v60, v27, v44
	v_fmac_f16_e32 v55, 0x39a8, v53
	v_fmac_f16_e32 v0, 0x39a8, v30
	v_fmamk_f16 v40, v31, 0xb9a8, v32
	v_fmac_f16_e32 v58, 0x39a8, v56
	v_fmac_f16_e32 v2, 0x39a8, v31
	v_fma_f16 v50, v21, 2.0, -v28
	v_fma_f16 v21, v45, 2.0, -v44
	v_fmac_f16_e32 v37, 0xb9a8, v25
	v_sub_f16_e32 v25, v22, v43
	v_sub_f16_e32 v44, v57, v18
	;; [unrolled: 1-line block ×3, first 2 shown]
	v_fma_f16 v30, v34, 2.0, -v59
	v_fma_f16 v62, v27, 2.0, -v60
	;; [unrolled: 1-line block ×4, first 2 shown]
	v_fmac_f16_e32 v40, 0xb9a8, v35
	v_fma_f16 v23, v26, 2.0, -v58
	v_fma_f16 v45, v29, 2.0, -v2
	v_sub_f16_e32 v51, v50, v21
	v_fma_f16 v47, v24, 2.0, -v37
	v_fmamk_f16 v21, v60, 0x39a8, v59
	v_fma_f16 v22, v22, 2.0, -v25
	v_fma_f16 v24, v57, 2.0, -v44
	;; [unrolled: 1-line block ×3, first 2 shown]
	v_fmamk_f16 v26, v62, 0xb9a8, v30
	v_fmamk_f16 v18, v0, 0x3b64, v55
	;; [unrolled: 1-line block ×4, first 2 shown]
	v_fma_f16 v48, v32, 2.0, -v40
	v_fmamk_f16 v31, v45, 0xbb64, v23
	v_add_f16_e32 v28, v25, v51
	v_fmac_f16_e32 v21, 0x39a8, v61
	v_sub_f16_e32 v24, v22, v24
	v_fmac_f16_e32 v26, 0x39a8, v63
	v_fmac_f16_e32 v18, 0x361f, v37
	;; [unrolled: 1-line block ×5, first 2 shown]
	v_fma_f16 v25, v25, 2.0, -v28
	v_fma_f16 v32, v59, 2.0, -v21
	ds_write_b16 v36, v28 offset:72
	ds_write_b16 v36, v21 offset:84
	;; [unrolled: 1-line block ×3, first 2 shown]
	v_fma_f16 v21, v22, 2.0, -v24
	v_fma_f16 v22, v30, 2.0, -v26
	;; [unrolled: 1-line block ×6, first 2 shown]
	ds_write_b16 v36, v25 offset:24
	ds_write_b16 v36, v32 offset:36
	;; [unrolled: 1-line block ×7, first 2 shown]
	ds_write_b16 v36, v21
	ds_write_b16 v36, v22 offset:12
	ds_write_b16 v36, v28 offset:18
	;; [unrolled: 1-line block ×5, first 2 shown]
	s_waitcnt lgkmcnt(0)
	s_barrier
	buffer_gl0_inv
	ds_read_u16 v32, v11 offset:396
	ds_read_u16 v21, v12
	ds_read_u16 v25, v11 offset:54
	ds_read_u16 v23, v11 offset:108
	;; [unrolled: 1-line block ×13, first 2 shown]
	v_mul_f16_e32 v55, 0x39a8, v54
	v_mul_f16_e32 v58, 0x39a8, v56
	;; [unrolled: 1-line block ×8, first 2 shown]
	s_and_saveexec_b32 s1, vcc_lo
	s_cbranch_execz .LBB0_21
; %bb.20:
	ds_read_u16 v18, v11 offset:270
	ds_read_u16 v14, v11 offset:558
	;; [unrolled: 1-line block ×3, first 2 shown]
.LBB0_21:
	s_or_b32 exec_lo, exec_lo, s1
	v_mul_f16_sdwa v9, v9, v3 dst_sel:DWORD dst_unused:UNUSED_PAD src0_sel:DWORD src1_sel:WORD_1
	s_waitcnt lgkmcnt(0)
	s_barrier
	buffer_gl0_inv
	v_fma_f16 v3, v42, v3, -v9
	v_fma_f16 v9, v38, 2.0, -v41
	v_fma_f16 v41, v50, 2.0, -v51
	v_sub_f16_e32 v3, v19, v3
	v_fma_f16 v19, v19, 2.0, -v3
	v_sub_f16_e32 v38, v3, v39
	;; [unrolled: 2-line block ×3, first 2 shown]
	v_fma_f16 v3, v3, 2.0, -v38
	v_add_f16_e32 v42, v38, v59
	v_fma_f16 v46, v19, 2.0, -v9
	v_sub_f16_e32 v19, v3, v58
	v_sub_f16_e32 v1, v9, v1
	;; [unrolled: 1-line block ×5, first 2 shown]
	v_fma_f16 v9, v9, 2.0, -v1
	v_fma_f16 v38, v38, 2.0, -v42
	v_fmamk_f16 v19, v37, 0x3b64, v42
	v_fma_f16 v37, v46, 2.0, -v39
	v_fma_f16 v3, v3, 2.0, -v49
	v_add_f16_e32 v50, v1, v56
	v_sub_f16_e32 v46, v9, v54
	v_fmamk_f16 v47, v47, 0xb61f, v38
	v_fmamk_f16 v40, v40, 0x361f, v49
	v_sub_f16_e32 v44, v39, v44
	v_fmac_f16_e32 v19, 0xb61f, v0
	v_sub_f16_e32 v0, v37, v41
	v_fmamk_f16 v41, v48, 0xbb64, v3
	v_sub_f16_e32 v50, v50, v53
	v_sub_f16_e32 v46, v46, v52
	v_fmac_f16_e32 v47, 0xbb64, v43
	v_fmac_f16_e32 v40, 0xbb64, v2
	v_fma_f16 v39, v39, 2.0, -v44
	v_fma_f16 v37, v37, 2.0, -v0
	v_fmac_f16_e32 v41, 0xb61f, v45
	v_fma_f16 v1, v1, 2.0, -v50
	v_fma_f16 v9, v9, 2.0, -v46
	;; [unrolled: 1-line block ×5, first 2 shown]
	ds_write_b16 v36, v39 offset:24
	ds_write_b16 v36, v1 offset:36
	;; [unrolled: 1-line block ×4, first 2 shown]
	v_fma_f16 v0, v3, 2.0, -v41
	ds_write_b16 v36, v37
	ds_write_b16 v36, v9 offset:12
	ds_write_b16 v36, v38 offset:18
	;; [unrolled: 1-line block ×11, first 2 shown]
	s_waitcnt lgkmcnt(0)
	s_barrier
	buffer_gl0_inv
	ds_read_u16 v36, v11 offset:342
	ds_read_u16 v47, v11 offset:396
	ds_read_u16 v43, v12
	ds_read_u16 v42, v11 offset:54
	ds_read_u16 v40, v11 offset:108
	ds_read_u16 v39, v11 offset:162
	ds_read_u16 v37, v11 offset:450
	ds_read_u16 v52, v11 offset:288
	ds_read_u16 v41, v11 offset:216
	ds_read_u16 v45, v11 offset:630
	ds_read_u16 v50, v11 offset:684
	ds_read_u16 v44, v11 offset:738
	ds_read_u16 v38, v11 offset:792
	ds_read_u16 v53, v11 offset:576
	ds_read_u16 v46, v11 offset:504
	s_and_saveexec_b32 s1, vcc_lo
	s_cbranch_execz .LBB0_23
; %bb.22:
	ds_read_u16 v19, v11 offset:270
	ds_read_u16 v20, v11 offset:558
	;; [unrolled: 1-line block ×3, first 2 shown]
.LBB0_23:
	s_or_b32 exec_lo, exec_lo, s1
	v_mov_b32_e32 v9, 0
	v_and_b32_e32 v49, 0xff, v17
	v_add_nc_u32_e32 v2, 27, v16
	v_subrev_nc_u32_e32 v48, 21, v16
	v_cmp_gt_u32_e64 s1, 21, v16
	v_lshlrev_b64 v[0:1], 2, v[8:9]
	v_add_nc_u32_e32 v8, 12, v8
	v_add_nc_u32_e32 v3, 0x51, v16
	v_mul_lo_u16 v56, 0xab, v49
	v_cndmask_b32_e64 v51, v48, v2, s1
	v_mov_b32_e32 v61, 3
	v_lshlrev_b64 v[48:49], 2, v[8:9]
	v_and_b32_e32 v57, 0xff, v3
	v_add_co_u32 v0, s1, s8, v0
	v_add_nc_u32_e32 v8, 0x6c, v16
	v_lshrrev_b16 v56, 13, v56
	v_add_co_ci_u32_e64 v1, s1, s9, v1, s1
	v_mul_lo_u16 v58, 0xab, v57
	v_add_co_u32 v48, s1, s8, v48
	v_add_co_ci_u32_e64 v49, s1, s9, v49, s1
	v_mov_b32_e32 v57, v9
	v_mul_lo_u16 v9, v56, 48
	v_and_b32_e32 v56, 0xff, v8
	v_lshrrev_b16 v58, 13, v58
	s_clause 0x1
	global_load_dwordx2 v[54:55], v[0:1], off offset:180
	global_load_dwordx2 v[59:60], v[48:49], off offset:180
	v_sub_nc_u16 v9, v17, v9
	v_mul_lo_u16 v48, 0xab, v56
	v_mul_lo_u16 v49, v58, 48
	v_lshlrev_b32_e32 v56, 1, v51
	v_mov_b32_e32 v66, 1
	v_lshlrev_b32_sdwa v51, v61, v9 dst_sel:DWORD dst_unused:UNUSED_PAD src0_sel:DWORD src1_sel:BYTE_0
	v_lshrrev_b16 v62, 13, v48
	v_sub_nc_u16 v63, v3, v49
	v_lshlrev_b64 v[48:49], 2, v[56:57]
	global_load_dwordx2 v[67:68], v51, s[8:9] offset:180
	v_mul_lo_u16 v51, v62, 48
	v_lshlrev_b32_sdwa v57, v61, v63 dst_sel:DWORD dst_unused:UNUSED_PAD src0_sel:DWORD src1_sel:BYTE_0
	v_add_co_u32 v48, s1, s8, v48
	v_sub_nc_u16 v51, v8, v51
	v_add_co_ci_u32_e64 v49, s1, s9, v49, s1
	s_clause 0x1
	global_load_dwordx2 v[70:71], v57, s[8:9] offset:180
	global_load_dwordx2 v[72:73], v[48:49], off offset:180
	v_lshlrev_b32_sdwa v48, v61, v51 dst_sel:DWORD dst_unused:UNUSED_PAD src0_sel:DWORD src1_sel:BYTE_0
	v_cmp_lt_u32_e64 s1, 20, v16
	v_and_b32_e32 v49, 0xffff, v58
	v_lshlrev_b32_sdwa v51, v66, v51 dst_sel:DWORD dst_unused:UNUSED_PAD src0_sel:DWORD src1_sel:BYTE_0
	global_load_dwordx2 v[74:75], v48, s[8:9] offset:180
	v_cndmask_b32_e64 v48, 0, 0x120, s1
	v_mad_u32_u24 v49, 0x120, v49, 0
	s_waitcnt vmcnt(0) lgkmcnt(0)
	s_barrier
	buffer_gl0_inv
	v_add_nc_u32_e32 v48, 0, v48
	v_add3_u32 v51, 0, v51, v10
	v_add3_u32 v48, v48, v56, v10
	v_lshlrev_b32_sdwa v56, v66, v63 dst_sel:DWORD dst_unused:UNUSED_PAD src0_sel:DWORD src1_sel:BYTE_0
	v_add3_u32 v49, v49, v56, v10
	v_mul_f16_sdwa v56, v52, v54 dst_sel:DWORD dst_unused:UNUSED_PAD src0_sel:DWORD src1_sel:WORD_1
	v_mul_f16_sdwa v58, v34, v54 dst_sel:DWORD dst_unused:UNUSED_PAD src0_sel:DWORD src1_sel:WORD_1
	;; [unrolled: 1-line block ×4, first 2 shown]
	v_fmac_f16_e32 v56, v34, v54
	v_fma_f16 v61, v52, v54, -v58
	v_fmac_f16_e32 v57, v35, v55
	v_mul_f16_sdwa v52, v47, v59 dst_sel:DWORD dst_unused:UNUSED_PAD src0_sel:DWORD src1_sel:WORD_1
	v_mul_f16_sdwa v34, v32, v59 dst_sel:DWORD dst_unused:UNUSED_PAD src0_sel:DWORD src1_sel:WORD_1
	v_mul_f16_sdwa v35, v33, v60 dst_sel:DWORD dst_unused:UNUSED_PAD src0_sel:DWORD src1_sel:WORD_1
	v_fma_f16 v55, v53, v55, -v62
	v_mul_f16_sdwa v53, v50, v60 dst_sel:DWORD dst_unused:UNUSED_PAD src0_sel:DWORD src1_sel:WORD_1
	v_add_f16_e32 v58, v21, v56
	v_add_f16_e32 v62, v56, v57
	v_fmac_f16_e32 v52, v32, v59
	v_fma_f16 v59, v47, v59, -v34
	v_fma_f16 v54, v50, v60, -v35
	v_mul_f16_sdwa v47, v20, v67 dst_sel:DWORD dst_unused:UNUSED_PAD src0_sel:DWORD src1_sel:WORD_1
	v_mul_f16_sdwa v50, v15, v68 dst_sel:DWORD dst_unused:UNUSED_PAD src0_sel:DWORD src1_sel:WORD_1
	v_sub_f16_e32 v69, v61, v55
	v_fmac_f16_e32 v53, v33, v60
	v_mul_f16_sdwa v32, v14, v67 dst_sel:DWORD dst_unused:UNUSED_PAD src0_sel:DWORD src1_sel:WORD_1
	v_mul_f16_sdwa v64, v36, v72 dst_sel:DWORD dst_unused:UNUSED_PAD src0_sel:DWORD src1_sel:WORD_1
	;; [unrolled: 1-line block ×4, first 2 shown]
	v_add_f16_e32 v34, v58, v57
	v_fmac_f16_e32 v21, -0.5, v62
	v_mul_f16_sdwa v78, v28, v72 dst_sel:DWORD dst_unused:UNUSED_PAD src0_sel:DWORD src1_sel:WORD_1
	v_mul_f16_sdwa v79, v31, v73 dst_sel:DWORD dst_unused:UNUSED_PAD src0_sel:DWORD src1_sel:WORD_1
	v_mul_f16_sdwa v62, v37, v70 dst_sel:DWORD dst_unused:UNUSED_PAD src0_sel:DWORD src1_sel:WORD_1
	v_mul_f16_sdwa v63, v44, v71 dst_sel:DWORD dst_unused:UNUSED_PAD src0_sel:DWORD src1_sel:WORD_1
	v_mul_f16_sdwa v58, v46, v74 dst_sel:DWORD dst_unused:UNUSED_PAD src0_sel:DWORD src1_sel:WORD_1
	v_mul_f16_sdwa v60, v38, v75 dst_sel:DWORD dst_unused:UNUSED_PAD src0_sel:DWORD src1_sel:WORD_1
	v_fmac_f16_e32 v47, v14, v67
	v_fmac_f16_e32 v50, v13, v68
	;; [unrolled: 1-line block ×4, first 2 shown]
	v_mul_f16_sdwa v80, v26, v70 dst_sel:DWORD dst_unused:UNUSED_PAD src0_sel:DWORD src1_sel:WORD_1
	v_mul_f16_sdwa v81, v29, v71 dst_sel:DWORD dst_unused:UNUSED_PAD src0_sel:DWORD src1_sel:WORD_1
	v_mul_f16_sdwa v82, v30, v74 dst_sel:DWORD dst_unused:UNUSED_PAD src0_sel:DWORD src1_sel:WORD_1
	v_mul_f16_sdwa v83, v27, v75 dst_sel:DWORD dst_unused:UNUSED_PAD src0_sel:DWORD src1_sel:WORD_1
	v_fma_f16 v14, v20, v67, -v32
	v_fma_f16 v13, v15, v68, -v33
	v_fmamk_f16 v20, v69, 0xbaee, v21
	v_fmac_f16_e32 v21, 0x3aee, v69
	v_fma_f16 v69, v36, v72, -v78
	v_fma_f16 v68, v45, v73, -v79
	v_fmac_f16_e32 v62, v26, v70
	v_fmac_f16_e32 v63, v29, v71
	;; [unrolled: 1-line block ×4, first 2 shown]
	v_add_f16_e32 v27, v47, v50
	v_add_f16_e32 v30, v64, v65
	;; [unrolled: 1-line block ×4, first 2 shown]
	ds_write_b16 v11, v34
	v_fma_f16 v67, v37, v70, -v80
	v_fma_f16 v45, v44, v71, -v81
	;; [unrolled: 1-line block ×4, first 2 shown]
	v_add_f16_e32 v26, v18, v47
	v_sub_f16_e32 v28, v14, v13
	ds_write_b16 v11, v20 offset:96
	ds_write_b16 v11, v21 offset:192
	v_add_f16_e32 v21, v25, v64
	v_sub_f16_e32 v31, v69, v68
	v_add_f16_e32 v34, v62, v63
	v_add_f16_e32 v37, v58, v60
	v_fmac_f16_e32 v18, -0.5, v27
	v_fmac_f16_e32 v25, -0.5, v30
	v_sub_f16_e32 v77, v59, v54
	v_fmac_f16_e32 v23, -0.5, v76
	v_add_f16_e32 v32, v35, v53
	v_add_f16_e32 v33, v22, v62
	v_sub_f16_e32 v35, v67, v45
	v_add_f16_e32 v36, v24, v58
	v_sub_f16_e32 v38, v44, v15
	v_add_f16_e32 v20, v26, v50
	v_add_f16_e32 v26, v21, v65
	v_fmac_f16_e32 v22, -0.5, v34
	v_fmac_f16_e32 v24, -0.5, v37
	v_fmamk_f16 v21, v28, 0xbaee, v18
	v_fmac_f16_e32 v18, 0x3aee, v28
	v_fmamk_f16 v28, v31, 0xbaee, v25
	v_fmac_f16_e32 v25, 0x3aee, v31
	;; [unrolled: 2-line block ×3, first 2 shown]
	v_add_f16_e32 v27, v33, v63
	v_add_f16_e32 v30, v36, v60
	ds_write_b16 v48, v26
	v_fmamk_f16 v26, v35, 0xbaee, v22
	v_fmac_f16_e32 v22, 0x3aee, v35
	v_fmamk_f16 v31, v38, 0xbaee, v24
	v_fmac_f16_e32 v24, 0x3aee, v38
	ds_write_b16 v48, v28 offset:96
	ds_write_b16 v48, v25 offset:192
	;; [unrolled: 1-line block ×5, first 2 shown]
	ds_write_b16 v49, v27
	ds_write_b16 v49, v26 offset:96
	ds_write_b16 v49, v22 offset:192
	;; [unrolled: 1-line block ×5, first 2 shown]
	s_and_saveexec_b32 s1, vcc_lo
	s_cbranch_execz .LBB0_25
; %bb.24:
	v_lshlrev_b32_sdwa v22, v66, v9 dst_sel:DWORD dst_unused:UNUSED_PAD src0_sel:DWORD src1_sel:BYTE_0
	v_add3_u32 v22, 0, v22, v10
	ds_write_b16 v22, v20 offset:576
	ds_write_b16 v22, v21 offset:672
	;; [unrolled: 1-line block ×3, first 2 shown]
.LBB0_25:
	s_or_b32 exec_lo, exec_lo, s1
	s_waitcnt lgkmcnt(0)
	s_barrier
	buffer_gl0_inv
	ds_read_u16 v26, v11 offset:342
	ds_read_u16 v29, v11 offset:396
	ds_read_u16 v35, v12
	ds_read_u16 v23, v11 offset:54
	ds_read_u16 v25, v11 offset:108
	ds_read_u16 v28, v11 offset:162
	ds_read_u16 v32, v11 offset:450
	ds_read_u16 v37, v11 offset:288
	ds_read_u16 v31, v11 offset:216
	ds_read_u16 v27, v11 offset:630
	ds_read_u16 v30, v11 offset:684
	ds_read_u16 v33, v11 offset:738
	ds_read_u16 v34, v11 offset:792
	ds_read_u16 v38, v11 offset:576
	ds_read_u16 v36, v11 offset:504
	v_add_nc_u32_e32 v46, 12, v11
	v_add_nc_u32_e32 v66, 0x180, v11
	s_and_saveexec_b32 s1, vcc_lo
	s_cbranch_execz .LBB0_27
; %bb.26:
	ds_read_u16 v20, v11 offset:270
	ds_read_u16 v21, v11 offset:558
	;; [unrolled: 1-line block ×3, first 2 shown]
.LBB0_27:
	s_or_b32 exec_lo, exec_lo, s1
	v_add_f16_e32 v22, v61, v55
	v_add_f16_e32 v24, v43, v61
	v_sub_f16_e32 v56, v56, v57
	v_add_f16_e32 v57, v69, v68
	v_sub_f16_e32 v47, v47, v50
	v_fmac_f16_e32 v43, -0.5, v22
	v_add_f16_e32 v22, v42, v69
	v_add_f16_e32 v55, v24, v55
	v_fmac_f16_e32 v42, -0.5, v57
	v_add_f16_e32 v24, v40, v59
	v_fmamk_f16 v57, v56, 0x3aee, v43
	v_fmac_f16_e32 v43, 0xbaee, v56
	v_add_f16_e32 v56, v22, v68
	v_add_f16_e32 v22, v59, v54
	;; [unrolled: 1-line block ×3, first 2 shown]
	v_sub_f16_e32 v61, v64, v65
	s_waitcnt lgkmcnt(0)
	s_barrier
	v_fmac_f16_e32 v40, -0.5, v22
	v_sub_f16_e32 v22, v52, v53
	v_add_f16_e32 v52, v24, v54
	v_add_f16_e32 v24, v39, v67
	v_fmac_f16_e32 v39, -0.5, v59
	v_sub_f16_e32 v53, v62, v63
	v_fmamk_f16 v54, v22, 0x3aee, v40
	v_fmac_f16_e32 v40, 0xbaee, v22
	v_add_f16_e32 v45, v24, v45
	v_add_f16_e32 v22, v44, v15
	;; [unrolled: 1-line block ×5, first 2 shown]
	v_fmamk_f16 v64, v61, 0x3aee, v42
	v_fmac_f16_e32 v41, -0.5, v22
	v_sub_f16_e32 v22, v58, v60
	v_fmac_f16_e32 v19, -0.5, v24
	v_add_f16_e32 v15, v44, v15
	v_fmac_f16_e32 v42, 0xbaee, v61
	v_fmamk_f16 v59, v53, 0x3aee, v39
	v_fmamk_f16 v44, v22, 0x3aee, v41
	v_fmac_f16_e32 v41, 0xbaee, v22
	v_add_f16_e32 v22, v14, v13
	v_fmamk_f16 v24, v47, 0x3aee, v19
	v_fmac_f16_e32 v19, 0xbaee, v47
	v_fmac_f16_e32 v39, 0xbaee, v53
	buffer_gl0_inv
	ds_write_b16 v11, v55
	ds_write_b16 v11, v57 offset:96
	ds_write_b16 v11, v43 offset:192
	ds_write_b16 v48, v56
	ds_write_b16 v48, v64 offset:96
	ds_write_b16 v48, v42 offset:192
	;; [unrolled: 1-line block ×5, first 2 shown]
	ds_write_b16 v49, v45
	ds_write_b16 v49, v59 offset:96
	ds_write_b16 v49, v39 offset:192
	;; [unrolled: 1-line block ×5, first 2 shown]
	s_and_saveexec_b32 s1, vcc_lo
	s_cbranch_execz .LBB0_29
; %bb.28:
	v_mov_b32_e32 v13, 1
	v_lshlrev_b32_sdwa v9, v13, v9 dst_sel:DWORD dst_unused:UNUSED_PAD src0_sel:DWORD src1_sel:BYTE_0
	v_add3_u32 v9, 0, v9, v10
	ds_write_b16 v9, v22 offset:576
	ds_write_b16 v9, v24 offset:672
	;; [unrolled: 1-line block ×3, first 2 shown]
.LBB0_29:
	s_or_b32 exec_lo, exec_lo, s1
	s_waitcnt lgkmcnt(0)
	s_barrier
	buffer_gl0_inv
	ds_read_u16 v41, v11 offset:342
	ds_read_u16 v44, v11 offset:396
	ds_read_u16 v50, v12
	ds_read_u16 v39, v11 offset:54
	ds_read_u16 v40, v11 offset:108
	;; [unrolled: 1-line block ×12, first 2 shown]
	s_and_saveexec_b32 s1, vcc_lo
	s_cbranch_execz .LBB0_31
; %bb.30:
	ds_read_u16 v22, v11 offset:270
	ds_read_u16 v24, v11 offset:558
	;; [unrolled: 1-line block ×3, first 2 shown]
.LBB0_31:
	s_or_b32 exec_lo, exec_lo, s1
	s_and_saveexec_b32 s1, s0
	s_cbranch_execz .LBB0_34
; %bb.32:
	global_load_dwordx2 v[14:15], v[0:1], off offset:564
	v_lshlrev_b32_e32 v0, 1, v8
	v_mov_b32_e32 v1, 0
	v_add_nc_u32_e32 v56, 27, v16
	v_mul_lo_u32 v7, s2, v7
	v_add_nc_u32_e32 v57, 54, v16
	v_mad_u64_u32 v[54:55], null, s2, v6, 0
	v_lshlrev_b64 v[8:9], 2, v[0:1]
	v_lshlrev_b32_e32 v0, 1, v3
	v_mul_hi_u32 v60, 0x38e38e39, v16
	v_mul_hi_u32 v61, 0x38e38e39, v56
	v_add_nc_u32_e32 v58, 0x51, v16
	v_add_nc_u32_e32 v59, 0x6c, v16
	v_add_co_u32 v8, s0, s8, v8
	v_lshlrev_b64 v[10:11], 2, v[0:1]
	v_add_co_ci_u32_e64 v9, s0, s9, v9, s0
	v_lshl_add_u32 v0, v16, 1, 0x6c
	v_mul_hi_u32 v62, 0x38e38e39, v57
	v_mul_hi_u32 v63, 0x38e38e39, v58
	global_load_dwordx2 v[12:13], v[8:9], off offset:564
	v_add_co_u32 v8, s0, s8, v10
	v_add_co_ci_u32_e64 v9, s0, s9, v11, s0
	v_mul_hi_u32 v64, 0x38e38e39, v59
	v_lshlrev_b64 v[4:5], 2, v[4:5]
	global_load_dwordx2 v[10:11], v[8:9], off offset:564
	v_lshlrev_b64 v[8:9], 2, v[0:1]
	v_lshlrev_b32_e32 v0, 1, v2
	v_add_co_u32 v8, s0, s8, v8
	v_add_co_ci_u32_e64 v9, s0, s9, v9, s0
	v_lshlrev_b64 v[2:3], 2, v[0:1]
	v_mul_lo_u32 v0, s3, v6
	v_add_nc_u32_e32 v6, 0x87, v16
	global_load_dwordx2 v[8:9], v[8:9], off offset:564
	v_add_co_u32 v2, s0, s8, v2
	v_add_co_ci_u32_e64 v3, s0, s9, v3, s0
	v_add3_u32 v55, v55, v7, v0
	v_lshrrev_b32_e32 v0, 5, v60
	v_lshrrev_b32_e32 v60, 5, v61
	global_load_dwordx2 v[2:3], v[2:3], off offset:564
	v_lshrrev_b32_e32 v61, 5, v62
	v_lshrrev_b32_e32 v62, 5, v63
	v_mul_lo_u32 v0, 0x90, v0
	v_mul_lo_u32 v7, 0x90, v60
	v_lshlrev_b64 v[54:55], 2, v[54:55]
	v_lshrrev_b32_e32 v63, 5, v64
	v_mul_lo_u32 v64, 0x90, v61
	v_mul_lo_u32 v65, 0x90, v62
	v_cmp_gt_u32_e64 s0, 0x90, v6
	v_mul_lo_u32 v66, 0x90, v63
	v_sub_nc_u32_e32 v67, v16, v0
	v_sub_nc_u32_e32 v0, v56, v7
	v_add_co_u32 v54, s1, s14, v54
	v_add_co_ci_u32_e64 v55, s1, s15, v55, s1
	v_sub_nc_u32_e32 v7, v57, v64
	v_mad_u64_u32 v[56:57], null, 0x1b0, v60, v[0:1]
	v_add_co_u32 v4, s1, v54, v4
	v_add_co_ci_u32_e64 v5, s1, v55, v5, s1
	v_sub_nc_u32_e32 v54, v58, v65
	v_sub_nc_u32_e32 v55, v59, v66
	v_lshlrev_b32_e32 v64, 2, v67
	v_mov_b32_e32 v57, v1
	v_add_nc_u32_e32 v0, 0x90, v56
	v_lshlrev_b64 v[72:73], 2, v[0:1]
	v_add_nc_u32_e32 v0, 0x120, v56
	s_waitcnt vmcnt(1)
	v_mad_u64_u32 v[58:59], null, 0x1b0, v61, v[7:8]
	v_mad_u64_u32 v[60:61], null, 0x1b0, v62, v[54:55]
	;; [unrolled: 1-line block ×3, first 2 shown]
	v_mov_b32_e32 v59, v1
	v_add_co_u32 v62, s1, v4, v64
	v_lshlrev_b64 v[64:65], 2, v[56:57]
	v_mov_b32_e32 v61, v1
	v_mov_b32_e32 v55, v1
	v_lshlrev_b64 v[66:67], 2, v[58:59]
	v_add_co_ci_u32_e64 v63, s1, 0, v5, s1
	v_lshlrev_b64 v[68:69], 2, v[60:61]
	v_lshlrev_b64 v[70:71], 2, v[54:55]
	v_add_co_u32 v55, s1, v4, v64
	v_add_co_ci_u32_e64 v56, s1, v5, v65, s1
	v_add_co_u32 v64, s1, v4, v66
	v_add_co_ci_u32_e64 v65, s1, v5, v67, s1
	;; [unrolled: 2-line block ×4, first 2 shown]
	v_lshlrev_b64 v[70:71], 2, v[0:1]
	v_add_nc_u32_e32 v0, 0x90, v58
	v_add_co_u32 v72, s1, v4, v72
	v_add_co_ci_u32_e64 v73, s1, v5, v73, s1
	v_lshlrev_b64 v[74:75], 2, v[0:1]
	v_add_nc_u32_e32 v0, 0x120, v58
	v_add_co_u32 v57, s1, v4, v70
	v_add_co_ci_u32_e64 v58, s1, v5, v71, s1
	;; [unrolled: 4-line block ×4, first 2 shown]
	v_lshlrev_b64 v[70:71], 2, v[0:1]
	v_add_nc_u32_e32 v0, 0x90, v54
	s_waitcnt lgkmcnt(7)
	v_mul_f16_sdwa v7, v52, v14 dst_sel:DWORD dst_unused:UNUSED_PAD src0_sel:DWORD src1_sel:WORD_1
	s_waitcnt lgkmcnt(1)
	v_mul_f16_sdwa v61, v53, v15 dst_sel:DWORD dst_unused:UNUSED_PAD src0_sel:DWORD src1_sel:WORD_1
	v_add_co_u32 v76, s1, v4, v76
	v_lshlrev_b64 v[78:79], 2, v[0:1]
	v_add_nc_u32_e32 v0, 0x120, v54
	v_mul_f16_sdwa v54, v38, v15 dst_sel:DWORD dst_unused:UNUSED_PAD src0_sel:DWORD src1_sel:WORD_1
	v_fmac_f16_e32 v7, v37, v14
	v_fmac_f16_e32 v61, v38, v15
	v_add_co_ci_u32_e64 v77, s1, v5, v77, s1
	v_lshlrev_b64 v[80:81], 2, v[0:1]
	v_mul_f16_sdwa v0, v37, v14 dst_sel:DWORD dst_unused:UNUSED_PAD src0_sel:DWORD src1_sel:WORD_1
	v_fma_f16 v37, v53, v15, -v54
	v_sub_f16_e32 v54, v7, v61
	v_add_co_u32 v70, s1, v4, v70
	v_fma_f16 v0, v52, v14, -v0
	v_add_f16_e32 v52, v7, v61
	v_add_f16_e32 v7, v35, v7
	v_add_co_ci_u32_e64 v71, s1, v5, v71, s1
	v_add_f16_e32 v38, v0, v37
	v_add_f16_e32 v53, v50, v0
	v_sub_f16_e32 v0, v0, v37
	v_fma_f16 v35, -0.5, v52, v35
	v_add_f16_e32 v7, v7, v61
	v_fma_f16 v38, -0.5, v38, v50
	v_add_f16_e32 v37, v53, v37
	v_mul_f16_sdwa v50, v36, v12 dst_sel:DWORD dst_unused:UNUSED_PAD src0_sel:DWORD src1_sel:WORD_1
	v_mul_f16_sdwa v52, v34, v13 dst_sel:DWORD dst_unused:UNUSED_PAD src0_sel:DWORD src1_sel:WORD_1
	s_waitcnt lgkmcnt(0)
	v_mul_f16_sdwa v53, v51, v12 dst_sel:DWORD dst_unused:UNUSED_PAD src0_sel:DWORD src1_sel:WORD_1
	v_mul_f16_sdwa v61, v49, v13 dst_sel:DWORD dst_unused:UNUSED_PAD src0_sel:DWORD src1_sel:WORD_1
	v_pack_b32_f16 v7, v7, v37
	v_fmamk_f16 v37, v0, 0x3aee, v35
	v_fmac_f16_e32 v35, 0xbaee, v0
	v_fma_f16 v0, v51, v12, -v50
	v_fma_f16 v49, v49, v13, -v52
	v_fmac_f16_e32 v53, v36, v12
	v_fmac_f16_e32 v61, v34, v13
	v_mul_f16_sdwa v12, v32, v10 dst_sel:DWORD dst_unused:UNUSED_PAD src0_sel:DWORD src1_sel:WORD_1
	v_mul_f16_sdwa v13, v33, v11 dst_sel:DWORD dst_unused:UNUSED_PAD src0_sel:DWORD src1_sel:WORD_1
	;; [unrolled: 1-line block ×4, first 2 shown]
	v_add_co_u32 v78, s1, v4, v78
	v_add_co_ci_u32_e64 v79, s1, v5, v79, s1
	v_add_co_u32 v14, s1, v4, v80
	v_fmamk_f16 v80, v54, 0xbaee, v38
	v_fmac_f16_e32 v38, 0x3aee, v54
	v_fma_f16 v12, v47, v10, -v12
	v_fma_f16 v13, v48, v11, -v13
	v_fmac_f16_e32 v34, v32, v10
	v_add_f16_e32 v10, v53, v61
	v_fmac_f16_e32 v36, v33, v11
	v_add_f16_e32 v32, v31, v53
	v_mul_f16_sdwa v33, v29, v8 dst_sel:DWORD dst_unused:UNUSED_PAD src0_sel:DWORD src1_sel:WORD_1
	v_mul_f16_sdwa v47, v30, v9 dst_sel:DWORD dst_unused:UNUSED_PAD src0_sel:DWORD src1_sel:WORD_1
	;; [unrolled: 1-line block ×4, first 2 shown]
	global_store_dword v[62:63], v7, off
	v_pack_b32_f16 v7, v35, v38
	v_pack_b32_f16 v35, v37, v80
	v_add_f16_e32 v37, v0, v49
	v_sub_f16_e32 v11, v0, v49
	v_fma_f16 v10, -0.5, v10, v31
	v_add_f16_e32 v31, v32, v61
	v_add_f16_e32 v32, v12, v13
	v_fma_f16 v33, v44, v8, -v33
	v_fma_f16 v44, v45, v9, -v47
	v_fmac_f16_e32 v48, v29, v8
	v_fmac_f16_e32 v50, v30, v9
	s_waitcnt vmcnt(0)
	v_mul_f16_sdwa v8, v26, v2 dst_sel:DWORD dst_unused:UNUSED_PAD src0_sel:DWORD src1_sel:WORD_1
	v_mul_f16_sdwa v9, v27, v3 dst_sel:DWORD dst_unused:UNUSED_PAD src0_sel:DWORD src1_sel:WORD_1
	;; [unrolled: 1-line block ×4, first 2 shown]
	v_add_f16_e32 v0, v46, v0
	global_store_dword v[62:63], v7, off offset:576
	global_store_dword v[62:63], v35, off offset:1152
	v_fma_f16 v7, -0.5, v37, v46
	v_sub_f16_e32 v35, v34, v36
	v_add_f16_e32 v37, v34, v36
	v_sub_f16_e32 v46, v12, v13
	v_add_f16_e32 v12, v43, v12
	v_add_f16_e32 v34, v28, v34
	v_fmamk_f16 v47, v11, 0x3aee, v10
	v_fmac_f16_e32 v10, 0xbaee, v11
	v_fma_f16 v11, -0.5, v32, v43
	v_add_f16_e32 v32, v33, v44
	v_fma_f16 v8, v41, v2, -v8
	v_fma_f16 v9, v42, v3, -v9
	v_fmac_f16_e32 v29, v26, v2
	v_fmac_f16_e32 v30, v27, v3
	v_sub_f16_e32 v38, v53, v61
	v_fma_f16 v28, -0.5, v37, v28
	v_add_f16_e32 v12, v12, v13
	v_add_f16_e32 v13, v34, v36
	;; [unrolled: 1-line block ×3, first 2 shown]
	v_sub_f16_e32 v37, v33, v44
	v_add_f16_e32 v33, v40, v33
	v_fmamk_f16 v2, v35, 0xbaee, v11
	v_fmac_f16_e32 v11, 0x3aee, v35
	v_fma_f16 v26, -0.5, v32, v40
	v_add_f16_e32 v32, v8, v9
	v_add_f16_e32 v35, v29, v30
	v_fmamk_f16 v45, v38, 0xbaee, v7
	v_fmac_f16_e32 v7, 0x3aee, v38
	v_add_f16_e32 v38, v25, v48
	v_fma_f16 v25, -0.5, v36, v25
	v_add_f16_e32 v27, v33, v44
	v_sub_f16_e32 v33, v29, v30
	v_sub_f16_e32 v36, v8, v9
	v_add_f16_e32 v8, v39, v8
	v_add_f16_e32 v29, v23, v29
	v_fma_f16 v32, -0.5, v32, v39
	v_fma_f16 v23, -0.5, v35, v23
	v_add_f16_e32 v0, v0, v49
	v_sub_f16_e32 v34, v48, v50
	v_fmamk_f16 v3, v46, 0x3aee, v28
	v_add_f16_e32 v8, v8, v9
	v_add_f16_e32 v9, v29, v30
	v_fmamk_f16 v29, v33, 0xbaee, v32
	v_fmamk_f16 v30, v36, 0x3aee, v23
	v_fmac_f16_e32 v32, 0x3aee, v33
	v_fmac_f16_e32 v23, 0xbaee, v36
	v_pack_b32_f16 v0, v31, v0
	v_add_f16_e32 v31, v38, v50
	v_pack_b32_f16 v12, v13, v12
	v_fmamk_f16 v13, v34, 0xbaee, v26
	v_fmamk_f16 v38, v37, 0x3aee, v25
	v_fmac_f16_e32 v26, 0x3aee, v34
	v_fmac_f16_e32 v25, 0xbaee, v37
	v_fmac_f16_e32 v28, 0xbaee, v46
	v_pack_b32_f16 v2, v3, v2
	v_pack_b32_f16 v3, v9, v8
	;; [unrolled: 1-line block ×6, first 2 shown]
	v_add_co_ci_u32_e64 v15, s1, v5, v81, s1
	v_pack_b32_f16 v7, v10, v7
	v_pack_b32_f16 v10, v47, v45
	;; [unrolled: 1-line block ×4, first 2 shown]
	global_store_dword v[55:56], v3, off
	global_store_dword v[72:73], v8, off
	;; [unrolled: 1-line block ×12, first 2 shown]
	s_and_b32 exec_lo, exec_lo, s0
	s_cbranch_execz .LBB0_34
; %bb.33:
	v_add_nc_u32_e32 v0, -9, v16
	v_mov_b32_e32 v7, v1
	v_cndmask_b32_e32 v0, v0, v17, vcc_lo
	v_lshlrev_b64 v[6:7], 2, v[6:7]
	v_lshlrev_b32_e32 v0, 1, v0
	v_lshlrev_b64 v[2:3], 2, v[0:1]
	v_add_nc_u32_e32 v0, 0x117, v16
	v_lshlrev_b64 v[8:9], 2, v[0:1]
	v_add_co_u32 v2, vcc_lo, s8, v2
	v_add_co_ci_u32_e32 v3, vcc_lo, s9, v3, vcc_lo
	v_add_co_u32 v6, vcc_lo, v4, v6
	v_add_co_ci_u32_e32 v7, vcc_lo, v5, v7, vcc_lo
	global_load_dwordx2 v[2:3], v[2:3], off offset:564
	v_add_nc_u32_e32 v0, 0x1a7, v16
	v_lshlrev_b64 v[0:1], 2, v[0:1]
	s_waitcnt vmcnt(0)
	v_mul_f16_sdwa v10, v24, v2 dst_sel:DWORD dst_unused:UNUSED_PAD src0_sel:DWORD src1_sel:WORD_1
	v_mul_f16_sdwa v11, v21, v2 dst_sel:DWORD dst_unused:UNUSED_PAD src0_sel:DWORD src1_sel:WORD_1
	;; [unrolled: 1-line block ×4, first 2 shown]
	v_fmac_f16_e32 v10, v21, v2
	v_fma_f16 v11, v24, v2, -v11
	v_fmac_f16_e32 v12, v18, v3
	v_fma_f16 v13, v19, v3, -v13
	v_add_co_u32 v2, vcc_lo, v4, v8
	v_add_co_ci_u32_e32 v3, vcc_lo, v5, v9, vcc_lo
	v_add_f16_e32 v8, v10, v12
	v_add_f16_e32 v14, v11, v13
	;; [unrolled: 1-line block ×3, first 2 shown]
	v_sub_f16_e32 v15, v11, v13
	v_add_f16_e32 v11, v22, v11
	v_fmac_f16_e32 v20, -0.5, v8
	v_sub_f16_e32 v8, v10, v12
	v_fmac_f16_e32 v22, -0.5, v14
	v_add_f16_e32 v9, v9, v12
	v_add_f16_e32 v10, v11, v13
	v_fmamk_f16 v11, v15, 0xbaee, v20
	v_fmac_f16_e32 v20, 0x3aee, v15
	v_fmamk_f16 v12, v8, 0x3aee, v22
	v_fmac_f16_e32 v22, 0xbaee, v8
	v_add_co_u32 v0, vcc_lo, v4, v0
	v_pack_b32_f16 v4, v9, v10
	v_add_co_ci_u32_e32 v1, vcc_lo, v5, v1, vcc_lo
	v_pack_b32_f16 v5, v11, v12
	v_pack_b32_f16 v8, v20, v22
	global_store_dword v[6:7], v4, off
	global_store_dword v[2:3], v5, off
	;; [unrolled: 1-line block ×3, first 2 shown]
.LBB0_34:
	s_endpgm
	.section	.rodata,"a",@progbits
	.p2align	6, 0x0
	.amdhsa_kernel fft_rtc_back_len432_factors_3_16_3_3_wgs_54_tpt_27_halfLds_half_op_CI_CI_unitstride_sbrr_dirReg
		.amdhsa_group_segment_fixed_size 0
		.amdhsa_private_segment_fixed_size 0
		.amdhsa_kernarg_size 104
		.amdhsa_user_sgpr_count 6
		.amdhsa_user_sgpr_private_segment_buffer 1
		.amdhsa_user_sgpr_dispatch_ptr 0
		.amdhsa_user_sgpr_queue_ptr 0
		.amdhsa_user_sgpr_kernarg_segment_ptr 1
		.amdhsa_user_sgpr_dispatch_id 0
		.amdhsa_user_sgpr_flat_scratch_init 0
		.amdhsa_user_sgpr_private_segment_size 0
		.amdhsa_wavefront_size32 1
		.amdhsa_uses_dynamic_stack 0
		.amdhsa_system_sgpr_private_segment_wavefront_offset 0
		.amdhsa_system_sgpr_workgroup_id_x 1
		.amdhsa_system_sgpr_workgroup_id_y 0
		.amdhsa_system_sgpr_workgroup_id_z 0
		.amdhsa_system_sgpr_workgroup_info 0
		.amdhsa_system_vgpr_workitem_id 0
		.amdhsa_next_free_vgpr 86
		.amdhsa_next_free_sgpr 27
		.amdhsa_reserve_vcc 1
		.amdhsa_reserve_flat_scratch 0
		.amdhsa_float_round_mode_32 0
		.amdhsa_float_round_mode_16_64 0
		.amdhsa_float_denorm_mode_32 3
		.amdhsa_float_denorm_mode_16_64 3
		.amdhsa_dx10_clamp 1
		.amdhsa_ieee_mode 1
		.amdhsa_fp16_overflow 0
		.amdhsa_workgroup_processor_mode 1
		.amdhsa_memory_ordered 1
		.amdhsa_forward_progress 0
		.amdhsa_shared_vgpr_count 0
		.amdhsa_exception_fp_ieee_invalid_op 0
		.amdhsa_exception_fp_denorm_src 0
		.amdhsa_exception_fp_ieee_div_zero 0
		.amdhsa_exception_fp_ieee_overflow 0
		.amdhsa_exception_fp_ieee_underflow 0
		.amdhsa_exception_fp_ieee_inexact 0
		.amdhsa_exception_int_div_zero 0
	.end_amdhsa_kernel
	.text
.Lfunc_end0:
	.size	fft_rtc_back_len432_factors_3_16_3_3_wgs_54_tpt_27_halfLds_half_op_CI_CI_unitstride_sbrr_dirReg, .Lfunc_end0-fft_rtc_back_len432_factors_3_16_3_3_wgs_54_tpt_27_halfLds_half_op_CI_CI_unitstride_sbrr_dirReg
                                        ; -- End function
	.section	.AMDGPU.csdata,"",@progbits
; Kernel info:
; codeLenInByte = 9068
; NumSgprs: 29
; NumVgprs: 86
; ScratchSize: 0
; MemoryBound: 0
; FloatMode: 240
; IeeeMode: 1
; LDSByteSize: 0 bytes/workgroup (compile time only)
; SGPRBlocks: 3
; VGPRBlocks: 10
; NumSGPRsForWavesPerEU: 29
; NumVGPRsForWavesPerEU: 86
; Occupancy: 10
; WaveLimiterHint : 1
; COMPUTE_PGM_RSRC2:SCRATCH_EN: 0
; COMPUTE_PGM_RSRC2:USER_SGPR: 6
; COMPUTE_PGM_RSRC2:TRAP_HANDLER: 0
; COMPUTE_PGM_RSRC2:TGID_X_EN: 1
; COMPUTE_PGM_RSRC2:TGID_Y_EN: 0
; COMPUTE_PGM_RSRC2:TGID_Z_EN: 0
; COMPUTE_PGM_RSRC2:TIDIG_COMP_CNT: 0
	.text
	.p2alignl 6, 3214868480
	.fill 48, 4, 3214868480
	.type	__hip_cuid_de382d4135495451,@object ; @__hip_cuid_de382d4135495451
	.section	.bss,"aw",@nobits
	.globl	__hip_cuid_de382d4135495451
__hip_cuid_de382d4135495451:
	.byte	0                               ; 0x0
	.size	__hip_cuid_de382d4135495451, 1

	.ident	"AMD clang version 19.0.0git (https://github.com/RadeonOpenCompute/llvm-project roc-6.4.0 25133 c7fe45cf4b819c5991fe208aaa96edf142730f1d)"
	.section	".note.GNU-stack","",@progbits
	.addrsig
	.addrsig_sym __hip_cuid_de382d4135495451
	.amdgpu_metadata
---
amdhsa.kernels:
  - .args:
      - .actual_access:  read_only
        .address_space:  global
        .offset:         0
        .size:           8
        .value_kind:     global_buffer
      - .offset:         8
        .size:           8
        .value_kind:     by_value
      - .actual_access:  read_only
        .address_space:  global
        .offset:         16
        .size:           8
        .value_kind:     global_buffer
      - .actual_access:  read_only
        .address_space:  global
        .offset:         24
        .size:           8
        .value_kind:     global_buffer
      - .actual_access:  read_only
        .address_space:  global
        .offset:         32
        .size:           8
        .value_kind:     global_buffer
      - .offset:         40
        .size:           8
        .value_kind:     by_value
      - .actual_access:  read_only
        .address_space:  global
        .offset:         48
        .size:           8
        .value_kind:     global_buffer
      - .actual_access:  read_only
        .address_space:  global
        .offset:         56
        .size:           8
        .value_kind:     global_buffer
      - .offset:         64
        .size:           4
        .value_kind:     by_value
      - .actual_access:  read_only
        .address_space:  global
        .offset:         72
        .size:           8
        .value_kind:     global_buffer
      - .actual_access:  read_only
        .address_space:  global
        .offset:         80
        .size:           8
        .value_kind:     global_buffer
      - .actual_access:  read_only
        .address_space:  global
        .offset:         88
        .size:           8
        .value_kind:     global_buffer
      - .actual_access:  write_only
        .address_space:  global
        .offset:         96
        .size:           8
        .value_kind:     global_buffer
    .group_segment_fixed_size: 0
    .kernarg_segment_align: 8
    .kernarg_segment_size: 104
    .language:       OpenCL C
    .language_version:
      - 2
      - 0
    .max_flat_workgroup_size: 54
    .name:           fft_rtc_back_len432_factors_3_16_3_3_wgs_54_tpt_27_halfLds_half_op_CI_CI_unitstride_sbrr_dirReg
    .private_segment_fixed_size: 0
    .sgpr_count:     29
    .sgpr_spill_count: 0
    .symbol:         fft_rtc_back_len432_factors_3_16_3_3_wgs_54_tpt_27_halfLds_half_op_CI_CI_unitstride_sbrr_dirReg.kd
    .uniform_work_group_size: 1
    .uses_dynamic_stack: false
    .vgpr_count:     86
    .vgpr_spill_count: 0
    .wavefront_size: 32
    .workgroup_processor_mode: 1
amdhsa.target:   amdgcn-amd-amdhsa--gfx1030
amdhsa.version:
  - 1
  - 2
...

	.end_amdgpu_metadata
